;; amdgpu-corpus repo=ROCm/rocFFT kind=compiled arch=gfx1100 opt=O3
	.text
	.amdgcn_target "amdgcn-amd-amdhsa--gfx1100"
	.amdhsa_code_object_version 6
	.protected	fft_rtc_fwd_len1210_factors_2_5_11_11_wgs_110_tpt_110_halfLds_half_op_CI_CI_unitstride_sbrr_dirReg ; -- Begin function fft_rtc_fwd_len1210_factors_2_5_11_11_wgs_110_tpt_110_halfLds_half_op_CI_CI_unitstride_sbrr_dirReg
	.globl	fft_rtc_fwd_len1210_factors_2_5_11_11_wgs_110_tpt_110_halfLds_half_op_CI_CI_unitstride_sbrr_dirReg
	.p2align	8
	.type	fft_rtc_fwd_len1210_factors_2_5_11_11_wgs_110_tpt_110_halfLds_half_op_CI_CI_unitstride_sbrr_dirReg,@function
fft_rtc_fwd_len1210_factors_2_5_11_11_wgs_110_tpt_110_halfLds_half_op_CI_CI_unitstride_sbrr_dirReg: ; @fft_rtc_fwd_len1210_factors_2_5_11_11_wgs_110_tpt_110_halfLds_half_op_CI_CI_unitstride_sbrr_dirReg
; %bb.0:
	s_clause 0x2
	s_load_b128 s[8:11], s[0:1], 0x0
	s_load_b128 s[4:7], s[0:1], 0x58
	;; [unrolled: 1-line block ×3, first 2 shown]
	v_mul_u32_u24_e32 v1, 0x254, v0
	v_mov_b32_e32 v3, 0
	s_delay_alu instid0(VALU_DEP_2) | instskip(NEXT) | instid1(VALU_DEP_1)
	v_lshrrev_b32_e32 v1, 16, v1
	v_add_nc_u32_e32 v5, s15, v1
	v_mov_b32_e32 v1, 0
	v_mov_b32_e32 v2, 0
	;; [unrolled: 1-line block ×3, first 2 shown]
	s_waitcnt lgkmcnt(0)
	v_cmp_lt_u64_e64 s2, s[10:11], 2
	s_delay_alu instid0(VALU_DEP_1)
	s_and_b32 vcc_lo, exec_lo, s2
	s_cbranch_vccnz .LBB0_8
; %bb.1:
	s_load_b64 s[2:3], s[0:1], 0x10
	v_mov_b32_e32 v1, 0
	v_mov_b32_e32 v2, 0
	s_add_u32 s12, s18, 8
	s_addc_u32 s13, s19, 0
	s_add_u32 s14, s16, 8
	s_addc_u32 s15, s17, 0
	v_dual_mov_b32 v9, v2 :: v_dual_mov_b32 v8, v1
	s_mov_b64 s[22:23], 1
	s_waitcnt lgkmcnt(0)
	s_add_u32 s20, s2, 8
	s_addc_u32 s21, s3, 0
.LBB0_2:                                ; =>This Inner Loop Header: Depth=1
	s_load_b64 s[24:25], s[20:21], 0x0
                                        ; implicit-def: $vgpr11_vgpr12
	s_mov_b32 s2, exec_lo
	s_waitcnt lgkmcnt(0)
	v_or_b32_e32 v4, s25, v6
	s_delay_alu instid0(VALU_DEP_1)
	v_cmpx_ne_u64_e32 0, v[3:4]
	s_xor_b32 s3, exec_lo, s2
	s_cbranch_execz .LBB0_4
; %bb.3:                                ;   in Loop: Header=BB0_2 Depth=1
	v_cvt_f32_u32_e32 v4, s24
	v_cvt_f32_u32_e32 v7, s25
	s_sub_u32 s2, 0, s24
	s_subb_u32 s26, 0, s25
	s_delay_alu instid0(VALU_DEP_1) | instskip(NEXT) | instid1(VALU_DEP_1)
	v_fmac_f32_e32 v4, 0x4f800000, v7
	v_rcp_f32_e32 v4, v4
	s_waitcnt_depctr 0xfff
	v_mul_f32_e32 v4, 0x5f7ffffc, v4
	s_delay_alu instid0(VALU_DEP_1) | instskip(NEXT) | instid1(VALU_DEP_1)
	v_mul_f32_e32 v7, 0x2f800000, v4
	v_trunc_f32_e32 v7, v7
	s_delay_alu instid0(VALU_DEP_1) | instskip(SKIP_1) | instid1(VALU_DEP_2)
	v_fmac_f32_e32 v4, 0xcf800000, v7
	v_cvt_u32_f32_e32 v7, v7
	v_cvt_u32_f32_e32 v4, v4
	s_delay_alu instid0(VALU_DEP_2) | instskip(NEXT) | instid1(VALU_DEP_2)
	v_mul_lo_u32 v10, s2, v7
	v_mul_hi_u32 v11, s2, v4
	v_mul_lo_u32 v12, s26, v4
	s_delay_alu instid0(VALU_DEP_2) | instskip(SKIP_1) | instid1(VALU_DEP_2)
	v_add_nc_u32_e32 v10, v11, v10
	v_mul_lo_u32 v11, s2, v4
	v_add_nc_u32_e32 v10, v10, v12
	s_delay_alu instid0(VALU_DEP_2) | instskip(NEXT) | instid1(VALU_DEP_2)
	v_mul_hi_u32 v12, v4, v11
	v_mul_lo_u32 v13, v4, v10
	v_mul_hi_u32 v14, v4, v10
	v_mul_hi_u32 v15, v7, v11
	v_mul_lo_u32 v11, v7, v11
	v_mul_hi_u32 v16, v7, v10
	v_mul_lo_u32 v10, v7, v10
	v_add_co_u32 v12, vcc_lo, v12, v13
	v_add_co_ci_u32_e32 v13, vcc_lo, 0, v14, vcc_lo
	s_delay_alu instid0(VALU_DEP_2) | instskip(NEXT) | instid1(VALU_DEP_2)
	v_add_co_u32 v11, vcc_lo, v12, v11
	v_add_co_ci_u32_e32 v11, vcc_lo, v13, v15, vcc_lo
	v_add_co_ci_u32_e32 v12, vcc_lo, 0, v16, vcc_lo
	s_delay_alu instid0(VALU_DEP_2) | instskip(NEXT) | instid1(VALU_DEP_2)
	v_add_co_u32 v10, vcc_lo, v11, v10
	v_add_co_ci_u32_e32 v11, vcc_lo, 0, v12, vcc_lo
	s_delay_alu instid0(VALU_DEP_2) | instskip(NEXT) | instid1(VALU_DEP_2)
	v_add_co_u32 v4, vcc_lo, v4, v10
	v_add_co_ci_u32_e32 v7, vcc_lo, v7, v11, vcc_lo
	s_delay_alu instid0(VALU_DEP_2) | instskip(SKIP_1) | instid1(VALU_DEP_3)
	v_mul_hi_u32 v10, s2, v4
	v_mul_lo_u32 v12, s26, v4
	v_mul_lo_u32 v11, s2, v7
	s_delay_alu instid0(VALU_DEP_1) | instskip(SKIP_1) | instid1(VALU_DEP_2)
	v_add_nc_u32_e32 v10, v10, v11
	v_mul_lo_u32 v11, s2, v4
	v_add_nc_u32_e32 v10, v10, v12
	s_delay_alu instid0(VALU_DEP_2) | instskip(NEXT) | instid1(VALU_DEP_2)
	v_mul_hi_u32 v12, v4, v11
	v_mul_lo_u32 v13, v4, v10
	v_mul_hi_u32 v14, v4, v10
	v_mul_hi_u32 v15, v7, v11
	v_mul_lo_u32 v11, v7, v11
	v_mul_hi_u32 v16, v7, v10
	v_mul_lo_u32 v10, v7, v10
	v_add_co_u32 v12, vcc_lo, v12, v13
	v_add_co_ci_u32_e32 v13, vcc_lo, 0, v14, vcc_lo
	s_delay_alu instid0(VALU_DEP_2) | instskip(NEXT) | instid1(VALU_DEP_2)
	v_add_co_u32 v11, vcc_lo, v12, v11
	v_add_co_ci_u32_e32 v11, vcc_lo, v13, v15, vcc_lo
	v_add_co_ci_u32_e32 v12, vcc_lo, 0, v16, vcc_lo
	s_delay_alu instid0(VALU_DEP_2) | instskip(NEXT) | instid1(VALU_DEP_2)
	v_add_co_u32 v10, vcc_lo, v11, v10
	v_add_co_ci_u32_e32 v11, vcc_lo, 0, v12, vcc_lo
	s_delay_alu instid0(VALU_DEP_2) | instskip(NEXT) | instid1(VALU_DEP_2)
	v_add_co_u32 v4, vcc_lo, v4, v10
	v_add_co_ci_u32_e32 v7, vcc_lo, v7, v11, vcc_lo
	s_delay_alu instid0(VALU_DEP_2) | instskip(SKIP_1) | instid1(VALU_DEP_3)
	v_mul_hi_u32 v16, v5, v4
	v_mad_u64_u32 v[12:13], null, v6, v4, 0
	v_mad_u64_u32 v[10:11], null, v5, v7, 0
	;; [unrolled: 1-line block ×3, first 2 shown]
	s_delay_alu instid0(VALU_DEP_2) | instskip(NEXT) | instid1(VALU_DEP_3)
	v_add_co_u32 v4, vcc_lo, v16, v10
	v_add_co_ci_u32_e32 v7, vcc_lo, 0, v11, vcc_lo
	s_delay_alu instid0(VALU_DEP_2) | instskip(NEXT) | instid1(VALU_DEP_2)
	v_add_co_u32 v4, vcc_lo, v4, v12
	v_add_co_ci_u32_e32 v4, vcc_lo, v7, v13, vcc_lo
	v_add_co_ci_u32_e32 v7, vcc_lo, 0, v15, vcc_lo
	s_delay_alu instid0(VALU_DEP_2) | instskip(NEXT) | instid1(VALU_DEP_2)
	v_add_co_u32 v4, vcc_lo, v4, v14
	v_add_co_ci_u32_e32 v7, vcc_lo, 0, v7, vcc_lo
	s_delay_alu instid0(VALU_DEP_2) | instskip(SKIP_1) | instid1(VALU_DEP_3)
	v_mul_lo_u32 v12, s25, v4
	v_mad_u64_u32 v[10:11], null, s24, v4, 0
	v_mul_lo_u32 v13, s24, v7
	s_delay_alu instid0(VALU_DEP_2) | instskip(NEXT) | instid1(VALU_DEP_2)
	v_sub_co_u32 v10, vcc_lo, v5, v10
	v_add3_u32 v11, v11, v13, v12
	s_delay_alu instid0(VALU_DEP_1) | instskip(NEXT) | instid1(VALU_DEP_1)
	v_sub_nc_u32_e32 v12, v6, v11
	v_subrev_co_ci_u32_e64 v12, s2, s25, v12, vcc_lo
	v_add_co_u32 v13, s2, v4, 2
	s_delay_alu instid0(VALU_DEP_1) | instskip(SKIP_3) | instid1(VALU_DEP_3)
	v_add_co_ci_u32_e64 v14, s2, 0, v7, s2
	v_sub_co_u32 v15, s2, v10, s24
	v_sub_co_ci_u32_e32 v11, vcc_lo, v6, v11, vcc_lo
	v_subrev_co_ci_u32_e64 v12, s2, 0, v12, s2
	v_cmp_le_u32_e32 vcc_lo, s24, v15
	s_delay_alu instid0(VALU_DEP_3) | instskip(SKIP_1) | instid1(VALU_DEP_4)
	v_cmp_eq_u32_e64 s2, s25, v11
	v_cndmask_b32_e64 v15, 0, -1, vcc_lo
	v_cmp_le_u32_e32 vcc_lo, s25, v12
	v_cndmask_b32_e64 v16, 0, -1, vcc_lo
	v_cmp_le_u32_e32 vcc_lo, s24, v10
	;; [unrolled: 2-line block ×3, first 2 shown]
	v_cndmask_b32_e64 v17, 0, -1, vcc_lo
	v_cmp_eq_u32_e32 vcc_lo, s25, v12
	s_delay_alu instid0(VALU_DEP_2) | instskip(SKIP_3) | instid1(VALU_DEP_3)
	v_cndmask_b32_e64 v10, v17, v10, s2
	v_cndmask_b32_e32 v12, v16, v15, vcc_lo
	v_add_co_u32 v15, vcc_lo, v4, 1
	v_add_co_ci_u32_e32 v16, vcc_lo, 0, v7, vcc_lo
	v_cmp_ne_u32_e32 vcc_lo, 0, v12
	s_delay_alu instid0(VALU_DEP_2) | instskip(NEXT) | instid1(VALU_DEP_4)
	v_cndmask_b32_e32 v11, v16, v14, vcc_lo
	v_cndmask_b32_e32 v13, v15, v13, vcc_lo
	v_cmp_ne_u32_e32 vcc_lo, 0, v10
	s_delay_alu instid0(VALU_DEP_2)
	v_dual_cndmask_b32 v12, v7, v11 :: v_dual_cndmask_b32 v11, v4, v13
.LBB0_4:                                ;   in Loop: Header=BB0_2 Depth=1
	s_and_not1_saveexec_b32 s2, s3
	s_cbranch_execz .LBB0_6
; %bb.5:                                ;   in Loop: Header=BB0_2 Depth=1
	v_cvt_f32_u32_e32 v4, s24
	s_sub_i32 s3, 0, s24
	v_mov_b32_e32 v12, v3
	s_delay_alu instid0(VALU_DEP_2) | instskip(SKIP_2) | instid1(VALU_DEP_1)
	v_rcp_iflag_f32_e32 v4, v4
	s_waitcnt_depctr 0xfff
	v_mul_f32_e32 v4, 0x4f7ffffe, v4
	v_cvt_u32_f32_e32 v4, v4
	s_delay_alu instid0(VALU_DEP_1) | instskip(NEXT) | instid1(VALU_DEP_1)
	v_mul_lo_u32 v7, s3, v4
	v_mul_hi_u32 v7, v4, v7
	s_delay_alu instid0(VALU_DEP_1) | instskip(NEXT) | instid1(VALU_DEP_1)
	v_add_nc_u32_e32 v4, v4, v7
	v_mul_hi_u32 v4, v5, v4
	s_delay_alu instid0(VALU_DEP_1) | instskip(SKIP_1) | instid1(VALU_DEP_2)
	v_mul_lo_u32 v7, v4, s24
	v_add_nc_u32_e32 v10, 1, v4
	v_sub_nc_u32_e32 v7, v5, v7
	s_delay_alu instid0(VALU_DEP_1) | instskip(SKIP_1) | instid1(VALU_DEP_2)
	v_subrev_nc_u32_e32 v11, s24, v7
	v_cmp_le_u32_e32 vcc_lo, s24, v7
	v_dual_cndmask_b32 v7, v7, v11 :: v_dual_cndmask_b32 v4, v4, v10
	s_delay_alu instid0(VALU_DEP_1) | instskip(NEXT) | instid1(VALU_DEP_2)
	v_cmp_le_u32_e32 vcc_lo, s24, v7
	v_add_nc_u32_e32 v10, 1, v4
	s_delay_alu instid0(VALU_DEP_1)
	v_cndmask_b32_e32 v11, v4, v10, vcc_lo
.LBB0_6:                                ;   in Loop: Header=BB0_2 Depth=1
	s_or_b32 exec_lo, exec_lo, s2
	s_delay_alu instid0(VALU_DEP_1) | instskip(NEXT) | instid1(VALU_DEP_2)
	v_mul_lo_u32 v4, v12, s24
	v_mul_lo_u32 v7, v11, s25
	s_load_b64 s[2:3], s[14:15], 0x0
	v_mad_u64_u32 v[13:14], null, v11, s24, 0
	s_load_b64 s[24:25], s[12:13], 0x0
	s_add_u32 s22, s22, 1
	s_addc_u32 s23, s23, 0
	s_add_u32 s12, s12, 8
	s_addc_u32 s13, s13, 0
	s_add_u32 s14, s14, 8
	s_delay_alu instid0(VALU_DEP_1) | instskip(SKIP_3) | instid1(VALU_DEP_2)
	v_add3_u32 v4, v14, v7, v4
	v_sub_co_u32 v10, vcc_lo, v5, v13
	s_addc_u32 s15, s15, 0
	s_add_u32 s20, s20, 8
	v_sub_co_ci_u32_e32 v6, vcc_lo, v6, v4, vcc_lo
	s_addc_u32 s21, s21, 0
	s_waitcnt lgkmcnt(0)
	s_delay_alu instid0(VALU_DEP_1)
	v_mul_lo_u32 v13, s2, v6
	v_mul_lo_u32 v14, s3, v10
	v_mad_u64_u32 v[4:5], null, s2, v10, v[1:2]
	v_mul_lo_u32 v15, s24, v6
	v_mul_lo_u32 v16, s25, v10
	v_mad_u64_u32 v[6:7], null, s24, v10, v[8:9]
	v_cmp_ge_u64_e64 s2, s[22:23], s[10:11]
	v_add3_u32 v2, v14, v5, v13
	s_delay_alu instid0(VALU_DEP_3) | instskip(NEXT) | instid1(VALU_DEP_4)
	v_dual_mov_b32 v1, v4 :: v_dual_mov_b32 v8, v6
	v_add3_u32 v9, v16, v7, v15
	s_delay_alu instid0(VALU_DEP_4)
	s_and_b32 vcc_lo, exec_lo, s2
	s_cbranch_vccnz .LBB0_9
; %bb.7:                                ;   in Loop: Header=BB0_2 Depth=1
	v_dual_mov_b32 v5, v11 :: v_dual_mov_b32 v6, v12
	s_branch .LBB0_2
.LBB0_8:
	v_dual_mov_b32 v9, v2 :: v_dual_mov_b32 v8, v1
	v_dual_mov_b32 v12, v6 :: v_dual_mov_b32 v11, v5
.LBB0_9:
	s_load_b64 s[0:1], s[0:1], 0x28
	v_mul_hi_u32 v22, 0x253c826, v0
	s_lshl_b64 s[10:11], s[10:11], 3
                                        ; implicit-def: $sgpr12
                                        ; implicit-def: $sgpr13
                                        ; implicit-def: $vgpr16
	s_delay_alu instid0(SALU_CYCLE_1) | instskip(SKIP_4) | instid1(VALU_DEP_1)
	s_add_u32 s2, s18, s10
	s_addc_u32 s3, s19, s11
	s_waitcnt lgkmcnt(0)
	v_cmp_gt_u64_e32 vcc_lo, s[0:1], v[11:12]
	v_cmp_le_u64_e64 s0, s[0:1], v[11:12]
	s_and_saveexec_b32 s1, s0
	s_delay_alu instid0(SALU_CYCLE_1)
	s_xor_b32 s0, exec_lo, s1
; %bb.10:
	v_mul_u32_u24_e32 v1, 0x6e, v22
	s_mov_b32 s13, 0
	s_mov_b32 s12, 0
                                        ; implicit-def: $vgpr22
	s_delay_alu instid0(VALU_DEP_1)
	v_sub_nc_u32_e32 v16, v0, v1
                                        ; implicit-def: $vgpr0
                                        ; implicit-def: $vgpr1_vgpr2
; %bb.11:
	s_or_saveexec_b32 s1, s0
	s_load_b64 s[2:3], s[2:3], 0x0
	v_dual_mov_b32 v29, s13 :: v_dual_mov_b32 v10, s12
	v_mov_b32_e32 v4, s13
                                        ; implicit-def: $vgpr3
                                        ; implicit-def: $vgpr5
                                        ; implicit-def: $vgpr32
                                        ; implicit-def: $vgpr17
                                        ; implicit-def: $vgpr30
                                        ; implicit-def: $vgpr6
                                        ; implicit-def: $vgpr33
                                        ; implicit-def: $vgpr7
                                        ; implicit-def: $vgpr31
                                        ; implicit-def: $vgpr13
                                        ; implicit-def: $vgpr35
                                        ; implicit-def: $vgpr14
                                        ; implicit-def: $vgpr34
                                        ; implicit-def: $vgpr15
                                        ; implicit-def: $vgpr37
                                        ; implicit-def: $vgpr19
                                        ; implicit-def: $vgpr36
                                        ; implicit-def: $vgpr18
                                        ; implicit-def: $vgpr38
                                        ; implicit-def: $vgpr20
                                        ; implicit-def: $vgpr28
                                        ; implicit-def: $vgpr21
	s_xor_b32 exec_lo, exec_lo, s1
	s_cbranch_execz .LBB0_15
; %bb.12:
	s_add_u32 s10, s16, s10
	s_addc_u32 s11, s17, s11
	v_lshlrev_b64 v[1:2], 2, v[1:2]
	s_load_b64 s[10:11], s[10:11], 0x0
                                        ; implicit-def: $vgpr21
                                        ; implicit-def: $vgpr28
	v_mov_b32_e32 v29, 0
	s_waitcnt lgkmcnt(0)
	v_mul_lo_u32 v5, s11, v11
	v_mul_lo_u32 v6, s10, v12
	v_mad_u64_u32 v[3:4], null, s10, v11, 0
	s_delay_alu instid0(VALU_DEP_1) | instskip(SKIP_1) | instid1(VALU_DEP_2)
	v_add3_u32 v4, v4, v6, v5
	v_mul_u32_u24_e32 v5, 0x6e, v22
	v_lshlrev_b64 v[3:4], 2, v[3:4]
	s_delay_alu instid0(VALU_DEP_2) | instskip(NEXT) | instid1(VALU_DEP_2)
	v_sub_nc_u32_e32 v16, v0, v5
	v_add_co_u32 v0, s0, s4, v3
	s_delay_alu instid0(VALU_DEP_1) | instskip(NEXT) | instid1(VALU_DEP_3)
	v_add_co_ci_u32_e64 v3, s0, s5, v4, s0
	v_lshlrev_b32_e32 v4, 2, v16
	s_delay_alu instid0(VALU_DEP_3) | instskip(NEXT) | instid1(VALU_DEP_1)
	v_add_co_u32 v0, s0, v0, v1
	v_add_co_ci_u32_e64 v1, s0, v3, v2, s0
	s_mov_b32 s4, exec_lo
	s_delay_alu instid0(VALU_DEP_2) | instskip(NEXT) | instid1(VALU_DEP_1)
	v_add_co_u32 v0, s0, v0, v4
	v_add_co_ci_u32_e64 v1, s0, 0, v1, s0
	v_mov_b32_e32 v4, 0
	s_delay_alu instid0(VALU_DEP_3)
	v_add_co_u32 v2, s0, 0x1000, v0
	s_clause 0x1
	global_load_b32 v7, v[0:1], off offset:2860
	global_load_b32 v14, v[0:1], off offset:3300
	v_add_co_ci_u32_e64 v3, s0, 0, v1, s0
	s_clause 0x7
	global_load_b32 v5, v[0:1], off
	global_load_b32 v6, v[0:1], off offset:440
	global_load_b32 v13, v[0:1], off offset:880
	;; [unrolled: 1-line block ×7, first 2 shown]
	v_cmpx_gt_u32_e32 55, v16
	s_cbranch_execz .LBB0_14
; %bb.13:
	s_clause 0x1
	global_load_b32 v4, v[0:1], off offset:2200
	global_load_b32 v21, v[2:3], off offset:524
	s_waitcnt vmcnt(1)
	v_lshrrev_b32_e32 v29, 16, v4
	s_waitcnt vmcnt(0)
	v_lshrrev_b32_e32 v28, 16, v21
.LBB0_14:
	s_or_b32 exec_lo, exec_lo, s4
	s_waitcnt vmcnt(7)
	v_lshrrev_b32_e32 v3, 16, v5
	s_waitcnt vmcnt(3)
	v_lshrrev_b32_e32 v32, 16, v17
	v_lshrrev_b32_e32 v30, 16, v6
	;; [unrolled: 1-line block ×6, first 2 shown]
	s_waitcnt vmcnt(1)
	v_lshrrev_b32_e32 v37, 16, v19
	v_lshrrev_b32_e32 v36, 16, v18
	s_waitcnt vmcnt(0)
	v_lshrrev_b32_e32 v38, 16, v20
	v_mov_b32_e32 v10, v16
.LBB0_15:
	s_or_b32 exec_lo, exec_lo, s1
	v_sub_f16_e32 v2, v5, v17
	v_sub_f16_e32 v17, v6, v7
	;; [unrolled: 1-line block ×6, first 2 shown]
	v_fma_f16 v6, v6, 2.0, -v17
	v_fma_f16 v21, v13, 2.0, -v22
	;; [unrolled: 1-line block ×3, first 2 shown]
	v_add_nc_u32_e32 v14, 0x6e, v16
	v_add_nc_u32_e32 v13, 0xdc, v16
	v_pack_b32_f16 v6, v6, v17
	v_pack_b32_f16 v17, v21, v22
	v_add_nc_u32_e32 v21, 0x226, v16
	v_fma_f16 v15, v15, 2.0, -v19
	v_fma_f16 v18, v18, 2.0, -v20
	v_lshl_add_u32 v1, v16, 2, 0
	v_fma_f16 v4, v4, 2.0, -v7
	v_lshlrev_b32_e32 v0, 1, v16
	v_pack_b32_f16 v5, v5, v2
	v_lshl_add_u32 v2, v14, 2, 0
	v_lshl_add_u32 v39, v13, 2, 0
	v_cmp_gt_u32_e64 s1, 55, v16
	v_lshl_add_u32 v40, v21, 2, 0
	v_pack_b32_f16 v15, v15, v19
	v_pack_b32_f16 v18, v18, v20
	v_add_nc_u32_e32 v19, 0x400, v1
	ds_store_b32 v1, v5
	ds_store_b32 v2, v6
	;; [unrolled: 1-line block ×3, first 2 shown]
	ds_store_2addr_b32 v19, v15, v18 offset0:74 offset1:184
	s_and_saveexec_b32 s0, s1
	s_cbranch_execz .LBB0_17
; %bb.16:
	v_perm_b32 v5, v7, v4, 0x5040100
	ds_store_b32 v40, v5
.LBB0_17:
	s_or_b32 exec_lo, exec_lo, s0
	v_sub_nc_u32_e32 v15, v1, v0
	s_waitcnt lgkmcnt(0)
	s_barrier
	buffer_gl0_inv
	v_sub_nc_u32_e32 v0, 0, v0
	ds_load_u16 v5, v15
	ds_load_u16 v17, v15 offset:1672
	ds_load_u16 v21, v15 offset:1452
	;; [unrolled: 1-line block ×9, first 2 shown]
	v_add_nc_u32_e32 v41, 0x528, v1
	v_add_nc_u32_e32 v42, 0x6e0, v1
	v_cmp_gt_u32_e64 s0, 22, v16
	v_add_nc_u32_e32 v15, v1, v0
                                        ; implicit-def: $vgpr22
                                        ; implicit-def: $vgpr25
                                        ; implicit-def: $vgpr26
	s_delay_alu instid0(VALU_DEP_2)
	s_and_saveexec_b32 s4, s0
	s_cbranch_execz .LBB0_19
; %bb.18:
	ds_load_u16 v4, v15 offset:440
	ds_load_u16 v7, v15 offset:924
	;; [unrolled: 1-line block ×5, first 2 shown]
.LBB0_19:
	s_or_b32 exec_lo, exec_lo, s4
	v_sub_f16_e32 v32, v3, v32
	v_sub_f16_e32 v33, v30, v33
	;; [unrolled: 1-line block ×5, first 2 shown]
	v_fma_f16 v3, v3, 2.0, -v32
	v_sub_f16_e32 v28, v29, v28
	v_fma_f16 v30, v30, 2.0, -v33
	v_fma_f16 v31, v31, 2.0, -v35
	;; [unrolled: 1-line block ×5, first 2 shown]
	v_pack_b32_f16 v3, v3, v32
	v_pack_b32_f16 v29, v30, v33
	;; [unrolled: 1-line block ×5, first 2 shown]
	s_waitcnt lgkmcnt(0)
	s_barrier
	buffer_gl0_inv
	ds_store_b32 v1, v3
	ds_store_b32 v2, v29
	;; [unrolled: 1-line block ×5, first 2 shown]
	s_and_saveexec_b32 s4, s1
	s_cbranch_execz .LBB0_21
; %bb.20:
	v_perm_b32 v1, v28, v0, 0x5040100
	ds_store_b32 v40, v1
.LBB0_21:
	s_or_b32 exec_lo, exec_lo, s4
	s_waitcnt lgkmcnt(0)
	s_barrier
	buffer_gl0_inv
	ds_load_u16 v2, v15
	ds_load_u16 v34, v15 offset:1672
	ds_load_u16 v44, v15 offset:1452
	ds_load_u16 v35, v15 offset:1188
	ds_load_u16 v46, v15 offset:968
	ds_load_u16 v43, v15 offset:704
	ds_load_u16 v48, v15 offset:484
	ds_load_u16 v3, v15 offset:220
	ds_load_u16 v47, v15 offset:1936
	ds_load_u16 v37, v15 offset:2156
                                        ; implicit-def: $vgpr41
                                        ; implicit-def: $vgpr42
                                        ; implicit-def: $vgpr45
	s_and_saveexec_b32 s1, s0
	s_cbranch_execz .LBB0_23
; %bb.22:
	ds_load_u16 v0, v15 offset:440
	ds_load_u16 v28, v15 offset:924
	;; [unrolled: 1-line block ×5, first 2 shown]
.LBB0_23:
	s_or_b32 exec_lo, exec_lo, s1
	v_and_b32_e32 v1, 1, v16
	v_lshrrev_b32_e32 v14, 1, v14
	v_lshrrev_b32_e32 v13, 1, v13
	s_delay_alu instid0(VALU_DEP_3) | instskip(NEXT) | instid1(VALU_DEP_3)
	v_lshlrev_b32_e32 v29, 4, v1
	v_mul_u32_u24_e32 v14, 10, v14
	global_load_b128 v[53:56], v29, s[8:9]
	v_lshrrev_b32_e32 v29, 1, v16
	v_or_b32_e32 v14, v14, v1
	s_waitcnt vmcnt(0) lgkmcnt(0)
	s_barrier
	buffer_gl0_inv
	v_mul_u32_u24_e32 v29, 10, v29
	v_lshl_add_u32 v32, v14, 1, 0
	s_delay_alu instid0(VALU_DEP_2) | instskip(NEXT) | instid1(VALU_DEP_1)
	v_or_b32_e32 v29, v29, v1
	v_lshl_add_u32 v33, v29, 1, 0
	v_lshrrev_b32_e32 v30, 16, v54
	v_lshrrev_b32_e32 v31, 16, v55
	;; [unrolled: 1-line block ×4, first 2 shown]
	s_delay_alu instid0(VALU_DEP_4) | instskip(NEXT) | instid1(VALU_DEP_4)
	v_mul_f16_e32 v59, v46, v30
	v_mul_f16_e32 v60, v44, v31
	s_delay_alu instid0(VALU_DEP_4) | instskip(NEXT) | instid1(VALU_DEP_4)
	v_mul_f16_e32 v58, v48, v29
	v_mul_f16_e32 v61, v47, v57
	;; [unrolled: 1-line block ×12, first 2 shown]
	v_fma_f16 v23, v23, v54, -v59
	v_fma_f16 v21, v21, v55, -v60
	v_mul_f16_e32 v38, v20, v29
	v_fma_f16 v27, v27, v53, -v58
	v_fma_f16 v24, v24, v56, -v61
	v_mul_f16_e32 v40, v17, v31
	v_mul_f16_e32 v36, v19, v57
	;; [unrolled: 1-line block ×9, first 2 shown]
	v_fma_f16 v20, v20, v53, -v62
	v_fma_f16 v18, v18, v54, -v63
	;; [unrolled: 1-line block ×4, first 2 shown]
	v_fmac_f16_e32 v51, v48, v53
	v_fmac_f16_e32 v50, v47, v56
	;; [unrolled: 1-line block ×3, first 2 shown]
	v_fma_f16 v35, v25, v55, -v68
	v_add_f16_e32 v25, v23, v21
	v_fmac_f16_e32 v52, v46, v54
	v_fmac_f16_e32 v49, v44, v55
	;; [unrolled: 1-line block ×3, first 2 shown]
	v_add_f16_e32 v43, v27, v24
	v_fmac_f16_e32 v40, v34, v55
	v_fmac_f16_e32 v36, v37, v56
	;; [unrolled: 1-line block ×4, first 2 shown]
	v_fma_f16 v37, v22, v56, -v69
	v_fmac_f16_e32 v31, v41, v56
	v_add_f16_e32 v22, v5, v27
	v_sub_f16_e32 v41, v27, v23
	v_sub_f16_e32 v42, v24, v21
	;; [unrolled: 1-line block ×4, first 2 shown]
	v_add_f16_e32 v47, v18, v17
	v_add_f16_e32 v56, v20, v19
	v_fma_f16 v34, v26, v54, -v67
	v_sub_f16_e32 v26, v51, v50
	v_fma_f16 v25, -0.5, v25, v5
	v_fmac_f16_e32 v14, v28, v53
	v_sub_f16_e32 v28, v52, v49
	v_sub_f16_e32 v54, v20, v18
	;; [unrolled: 1-line block ×3, first 2 shown]
	v_fmac_f16_e32 v5, -0.5, v43
	v_fma_f16 v7, v7, v53, -v66
	v_add_f16_e32 v46, v6, v20
	v_sub_f16_e32 v48, v38, v36
	v_sub_f16_e32 v53, v39, v40
	v_add_f16_e32 v22, v22, v23
	v_add_f16_e32 v41, v41, v42
	;; [unrolled: 1-line block ×3, first 2 shown]
	v_fma_f16 v44, -0.5, v47, v6
	v_fmac_f16_e32 v6, -0.5, v56
	v_fmamk_f16 v47, v26, 0x3b9c, v25
	v_add_f16_e32 v45, v54, v55
	v_fmamk_f16 v54, v28, 0xbb9c, v5
	v_fmac_f16_e32 v5, 0x3b9c, v28
	v_fmac_f16_e32 v25, 0xbb9c, v26
	v_sub_f16_e32 v57, v18, v20
	v_sub_f16_e32 v58, v17, v19
	v_add_f16_e32 v43, v46, v18
	v_add_f16_e32 v22, v22, v21
	v_fmamk_f16 v55, v48, 0x3b9c, v44
	v_fmac_f16_e32 v44, 0xbb9c, v48
	v_fmamk_f16 v56, v53, 0xbb9c, v6
	v_fmac_f16_e32 v6, 0x3b9c, v53
	v_fmac_f16_e32 v47, 0x38b4, v28
	;; [unrolled: 1-line block ×5, first 2 shown]
	v_add_f16_e32 v46, v57, v58
	v_add_f16_e32 v43, v43, v17
	;; [unrolled: 1-line block ×3, first 2 shown]
	v_fmac_f16_e32 v55, 0x38b4, v53
	v_fmac_f16_e32 v44, 0xb8b4, v53
	;; [unrolled: 1-line block ×8, first 2 shown]
	v_add_f16_e32 v26, v43, v19
	v_fmac_f16_e32 v55, 0x34f2, v45
	v_fmac_f16_e32 v44, 0x34f2, v45
	;; [unrolled: 1-line block ×4, first 2 shown]
	ds_store_b16 v33, v22
	ds_store_b16 v33, v47 offset:4
	ds_store_b16 v33, v54 offset:8
	;; [unrolled: 1-line block ×4, first 2 shown]
	ds_store_b16 v32, v26
	ds_store_b16 v32, v55 offset:4
	ds_store_b16 v32, v56 offset:8
	ds_store_b16 v32, v6 offset:12
	ds_store_b16 v32, v44 offset:16
	s_and_saveexec_b32 s1, s0
	s_cbranch_execz .LBB0_25
; %bb.24:
	v_add_f16_e32 v5, v7, v37
	v_add_f16_e32 v26, v34, v35
	v_sub_f16_e32 v6, v34, v7
	v_sub_f16_e32 v22, v35, v37
	v_add_f16_e32 v42, v4, v7
	v_fma_f16 v5, -0.5, v5, v4
	v_sub_f16_e32 v28, v14, v31
	v_fma_f16 v4, -0.5, v26, v4
	v_sub_f16_e32 v25, v29, v30
	v_sub_f16_e32 v41, v7, v34
	;; [unrolled: 1-line block ×3, first 2 shown]
	v_add_f16_e32 v6, v6, v22
	v_add_f16_e32 v22, v42, v34
	v_mul_u32_u24_e32 v44, 10, v13
	v_fmamk_f16 v42, v28, 0xbb9c, v4
	v_fmac_f16_e32 v4, 0x3b9c, v28
	v_fmamk_f16 v26, v25, 0x3b9c, v5
	v_fmac_f16_e32 v5, 0xbb9c, v25
	v_add_f16_e32 v41, v41, v43
	v_add_f16_e32 v22, v22, v35
	v_or_b32_e32 v43, v44, v1
	v_fmac_f16_e32 v4, 0x38b4, v25
	v_fmac_f16_e32 v5, 0x38b4, v28
	;; [unrolled: 1-line block ×4, first 2 shown]
	v_add_f16_e32 v22, v22, v37
	v_lshl_add_u32 v25, v43, 1, 0
	v_fmac_f16_e32 v4, 0x34f2, v41
	v_fmac_f16_e32 v5, 0x34f2, v6
	;; [unrolled: 1-line block ×4, first 2 shown]
	ds_store_b16 v25, v22
	ds_store_b16 v25, v4 offset:4
	ds_store_b16 v25, v5 offset:8
	;; [unrolled: 1-line block ×4, first 2 shown]
.LBB0_25:
	s_or_b32 exec_lo, exec_lo, s1
	v_add_f16_e32 v4, v52, v49
	v_sub_f16_e32 v6, v27, v24
	v_sub_f16_e32 v21, v23, v21
	v_add_f16_e32 v23, v51, v50
	v_add_f16_e32 v5, v2, v51
	v_fma_f16 v4, -0.5, v4, v2
	v_sub_f16_e32 v22, v51, v52
	v_sub_f16_e32 v24, v50, v49
	v_fmac_f16_e32 v2, -0.5, v23
	v_sub_f16_e32 v25, v52, v51
	v_fmamk_f16 v41, v6, 0xbb9c, v4
	v_fmac_f16_e32 v4, 0x3b9c, v6
	v_add_f16_e32 v22, v22, v24
	v_fmamk_f16 v42, v21, 0x3b9c, v2
	v_fmac_f16_e32 v2, 0xbb9c, v21
	v_fmac_f16_e32 v41, 0xb8b4, v21
	;; [unrolled: 1-line block ×3, first 2 shown]
	v_add_f16_e32 v21, v3, v38
	v_add_f16_e32 v24, v39, v40
	v_sub_f16_e32 v23, v49, v50
	v_fmac_f16_e32 v42, 0xb8b4, v6
	v_fmac_f16_e32 v2, 0x38b4, v6
	v_add_f16_e32 v6, v21, v39
	v_fma_f16 v43, -0.5, v24, v3
	v_add_f16_e32 v21, v38, v36
	v_sub_f16_e32 v44, v20, v19
	v_sub_f16_e32 v18, v18, v17
	;; [unrolled: 1-line block ×4, first 2 shown]
	v_add_f16_e32 v23, v25, v23
	v_fmac_f16_e32 v3, -0.5, v21
	v_fmamk_f16 v45, v44, 0xbb9c, v43
	v_fmac_f16_e32 v43, 0x3b9c, v44
	v_sub_f16_e32 v20, v39, v38
	v_sub_f16_e32 v21, v40, v36
	v_add_f16_e32 v38, v17, v19
	v_lshl_add_u32 v17, v16, 1, 0
	v_fmac_f16_e32 v41, 0x34f2, v22
	v_fmac_f16_e32 v4, 0x34f2, v22
	;; [unrolled: 1-line block ×4, first 2 shown]
	v_fmamk_f16 v46, v18, 0x3b9c, v3
	v_fmac_f16_e32 v45, 0xb8b4, v18
	v_fmac_f16_e32 v43, 0x38b4, v18
	v_add_f16_e32 v39, v20, v21
	v_fmac_f16_e32 v3, 0xbb9c, v18
	s_waitcnt lgkmcnt(0)
	s_barrier
	buffer_gl0_inv
	ds_load_u16 v26, v17 offset:440
	ds_load_u16 v25, v17 offset:660
	;; [unrolled: 1-line block ×6, first 2 shown]
	ds_load_u16 v18, v15
	ds_load_u16 v27, v17 offset:1100
	ds_load_u16 v23, v15 offset:1760
	ds_load_u16 v20, v15 offset:1980
	ds_load_u16 v21, v15 offset:2200
	v_add_f16_e32 v5, v5, v52
	v_add_f16_e32 v6, v6, v40
	v_fmac_f16_e32 v46, 0xb8b4, v44
	v_fmac_f16_e32 v3, 0x38b4, v44
	v_fmac_f16_e32 v45, 0x34f2, v38
	v_add_f16_e32 v5, v5, v49
	v_add_f16_e32 v6, v6, v36
	v_fmac_f16_e32 v43, 0x34f2, v38
	v_fmac_f16_e32 v46, 0x34f2, v39
	;; [unrolled: 1-line block ×3, first 2 shown]
	v_add_f16_e32 v5, v5, v50
	s_waitcnt lgkmcnt(0)
	s_barrier
	buffer_gl0_inv
	ds_store_b16 v33, v5
	ds_store_b16 v33, v41 offset:4
	ds_store_b16 v33, v42 offset:8
	;; [unrolled: 1-line block ×4, first 2 shown]
	ds_store_b16 v32, v6
	ds_store_b16 v32, v45 offset:4
	ds_store_b16 v32, v46 offset:8
	;; [unrolled: 1-line block ×4, first 2 shown]
	s_and_saveexec_b32 s1, s0
	s_cbranch_execz .LBB0_27
; %bb.26:
	v_add_f16_e32 v3, v29, v30
	v_add_f16_e32 v6, v14, v31
	;; [unrolled: 1-line block ×3, first 2 shown]
	v_sub_f16_e32 v4, v7, v37
	v_sub_f16_e32 v5, v34, v35
	v_fma_f16 v3, -0.5, v3, v0
	v_sub_f16_e32 v7, v14, v29
	v_sub_f16_e32 v32, v31, v30
	v_fmac_f16_e32 v0, -0.5, v6
	v_add_f16_e32 v2, v2, v29
	v_mul_u32_u24_e32 v13, 10, v13
	v_fmamk_f16 v6, v4, 0xbb9c, v3
	v_add_f16_e32 v7, v7, v32
	v_fmamk_f16 v32, v5, 0x3b9c, v0
	v_sub_f16_e32 v14, v29, v14
	v_sub_f16_e32 v29, v30, v31
	v_fmac_f16_e32 v0, 0xbb9c, v5
	v_fmac_f16_e32 v3, 0x3b9c, v4
	v_add_f16_e32 v2, v2, v30
	v_or_b32_e32 v1, v13, v1
	v_fmac_f16_e32 v6, 0xb8b4, v5
	v_fmac_f16_e32 v32, 0xb8b4, v4
	v_add_f16_e32 v13, v14, v29
	v_fmac_f16_e32 v0, 0x38b4, v4
	v_fmac_f16_e32 v3, 0x38b4, v5
	v_add_f16_e32 v2, v2, v31
	v_lshl_add_u32 v1, v1, 1, 0
	v_fmac_f16_e32 v6, 0x34f2, v7
	v_fmac_f16_e32 v32, 0x34f2, v13
	;; [unrolled: 1-line block ×4, first 2 shown]
	ds_store_b16 v1, v2
	ds_store_b16 v1, v6 offset:4
	ds_store_b16 v1, v32 offset:8
	;; [unrolled: 1-line block ×4, first 2 shown]
.LBB0_27:
	s_or_b32 exec_lo, exec_lo, s1
	v_and_b32_e32 v0, 0xff, v16
	s_waitcnt lgkmcnt(0)
	s_barrier
	buffer_gl0_inv
	v_mul_lo_u16 v0, 0xcd, v0
	s_delay_alu instid0(VALU_DEP_1) | instskip(NEXT) | instid1(VALU_DEP_1)
	v_lshrrev_b16 v29, 11, v0
	v_mul_lo_u16 v0, v29, 10
	v_and_b32_e32 v29, 0xffff, v29
	s_delay_alu instid0(VALU_DEP_2) | instskip(NEXT) | instid1(VALU_DEP_2)
	v_sub_nc_u16 v0, v16, v0
	v_mul_u32_u24_e32 v29, 0xdc, v29
	s_delay_alu instid0(VALU_DEP_2) | instskip(NEXT) | instid1(VALU_DEP_1)
	v_and_b32_e32 v30, 0xff, v0
	v_mul_u32_u24_e32 v0, 10, v30
	v_lshlrev_b32_e32 v35, 1, v30
	s_delay_alu instid0(VALU_DEP_2) | instskip(NEXT) | instid1(VALU_DEP_2)
	v_lshlrev_b32_e32 v13, 2, v0
	v_add3_u32 v29, 0, v29, v35
	s_clause 0x2
	global_load_b128 v[0:3], v13, s[8:9] offset:32
	global_load_b128 v[4:7], v13, s[8:9] offset:48
	global_load_b64 v[13:14], v13, s[8:9] offset:64
	ds_load_u16 v31, v17 offset:440
	ds_load_u16 v32, v17 offset:660
	;; [unrolled: 1-line block ×4, first 2 shown]
	ds_load_u16 v30, v15
	ds_load_u16 v36, v15 offset:220
	ds_load_u16 v37, v15 offset:1320
	;; [unrolled: 1-line block ×6, first 2 shown]
	s_waitcnt vmcnt(0) lgkmcnt(0)
	s_barrier
	buffer_gl0_inv
	v_lshrrev_b32_e32 v35, 16, v0
	v_lshrrev_b32_e32 v42, 16, v1
	;; [unrolled: 1-line block ×9, first 2 shown]
	v_mul_f16_e32 v51, v36, v35
	v_lshrrev_b32_e32 v50, 16, v14
	v_mul_f16_e32 v35, v28, v35
	v_mul_f16_e32 v52, v31, v42
	v_mul_f16_e32 v42, v26, v42
	v_mul_f16_e32 v53, v32, v43
	v_mul_f16_e32 v43, v25, v43
	v_mul_f16_e32 v54, v33, v44
	v_mul_f16_e32 v44, v24, v44
	v_mul_f16_e32 v55, v34, v45
	v_mul_f16_e32 v45, v27, v45
	v_mul_f16_e32 v56, v37, v46
	v_mul_f16_e32 v46, v22, v46
	v_mul_f16_e32 v57, v38, v47
	v_mul_f16_e32 v47, v19, v47
	v_mul_f16_e32 v58, v39, v48
	v_mul_f16_e32 v48, v23, v48
	v_mul_f16_e32 v59, v40, v49
	v_mul_f16_e32 v49, v20, v49
	v_fma_f16 v28, v28, v0, -v51
	v_mul_f16_e32 v60, v41, v50
	v_mul_f16_e32 v50, v21, v50
	v_fmac_f16_e32 v35, v36, v0
	v_fma_f16 v0, v26, v1, -v52
	v_fmac_f16_e32 v42, v31, v1
	v_fma_f16 v1, v25, v2, -v53
	;; [unrolled: 2-line block ×8, first 2 shown]
	v_fmac_f16_e32 v49, v40, v13
	v_add_f16_e32 v13, v18, v28
	v_fma_f16 v19, v21, v14, -v60
	v_fmac_f16_e32 v50, v41, v14
	v_add_f16_e32 v14, v30, v35
	v_add_f16_e32 v24, v0, v7
	v_sub_f16_e32 v26, v0, v7
	v_add_f16_e32 v0, v13, v0
	v_sub_f16_e32 v22, v28, v19
	v_sub_f16_e32 v23, v35, v50
	v_add_f16_e32 v13, v14, v42
	v_add_f16_e32 v20, v28, v19
	;; [unrolled: 1-line block ×5, first 2 shown]
	v_sub_f16_e32 v27, v42, v49
	v_add_f16_e32 v28, v1, v6
	v_sub_f16_e32 v32, v1, v6
	v_sub_f16_e32 v33, v43, v48
	;; [unrolled: 1-line block ×6, first 2 shown]
	v_mul_f16_e32 v14, 0xb853, v23
	v_mul_f16_e32 v42, 0xb853, v22
	;; [unrolled: 1-line block ×8, first 2 shown]
	v_add_f16_e32 v1, v13, v43
	v_add_f16_e32 v0, v0, v2
	;; [unrolled: 1-line block ×7, first 2 shown]
	v_mul_f16_e32 v56, 0xba0c, v22
	v_mul_f16_e32 v22, 0xb482, v22
	;; [unrolled: 1-line block ×42, first 2 shown]
	v_fma_f16 v13, v20, 0x3abb, -v14
	v_fmamk_f16 v43, v21, 0x3abb, v42
	v_fmac_f16_e32 v14, 0x3abb, v20
	v_fma_f16 v42, v21, 0x3abb, -v42
	v_fma_f16 v89, v20, 0x36a6, -v51
	v_fmamk_f16 v90, v21, 0x36a6, v52
	v_fmac_f16_e32 v51, 0x36a6, v20
	v_fma_f16 v52, v21, 0x36a6, -v52
	;; [unrolled: 4-line block ×3, first 2 shown]
	v_fmac_f16_e32 v55, 0xb93d, v20
	v_fma_f16 v95, v20, 0xbbad, -v23
	v_fmac_f16_e32 v23, 0xbbad, v20
	v_add_f16_e32 v1, v1, v44
	v_add_f16_e32 v0, v0, v3
	v_fma_f16 v54, v21, 0xb08e, -v54
	v_fmamk_f16 v94, v21, 0xb93d, v56
	v_fma_f16 v56, v21, 0xb93d, -v56
	v_fmamk_f16 v96, v21, 0xbbad, v22
	v_fma_f16 v20, v21, 0xbbad, -v22
	v_fma_f16 v21, v24, 0x36a6, -v57
	v_fmamk_f16 v22, v25, 0x36a6, v58
	v_fmac_f16_e32 v57, 0x36a6, v24
	v_fma_f16 v58, v25, 0x36a6, -v58
	v_fma_f16 v97, v24, 0xb93d, -v59
	v_fmamk_f16 v98, v25, 0xb93d, v60
	v_fmac_f16_e32 v59, 0xb93d, v24
	v_fma_f16 v60, v25, 0xb93d, -v60
	v_fma_f16 v99, v24, 0xbbad, -v61
	v_fmamk_f16 v100, v25, 0xbbad, v62
	v_fmac_f16_e32 v61, 0xbbad, v24
	v_fma_f16 v62, v25, 0xbbad, -v62
	v_fma_f16 v101, v24, 0xb08e, -v63
	v_fmamk_f16 v102, v25, 0xb08e, v64
	v_fmac_f16_e32 v63, 0xb08e, v24
	v_fma_f16 v64, v25, 0xb08e, -v64
	v_fma_f16 v103, v24, 0x3abb, -v27
	v_fmamk_f16 v104, v25, 0x3abb, v26
	v_fmac_f16_e32 v27, 0x3abb, v24
	v_fma_f16 v24, v25, 0x3abb, -v26
	v_fma_f16 v25, v28, 0xb08e, -v65
	v_fmamk_f16 v26, v31, 0xb08e, v66
	v_fmac_f16_e32 v65, 0xb08e, v28
	v_fma_f16 v66, v31, 0xb08e, -v66
	v_fma_f16 v105, v28, 0xbbad, -v67
	v_fmamk_f16 v106, v31, 0xbbad, v68
	v_fmac_f16_e32 v67, 0xbbad, v28
	v_fma_f16 v68, v31, 0xbbad, -v68
	v_fma_f16 v107, v28, 0x36a6, -v69
	v_fmamk_f16 v108, v31, 0x36a6, v70
	v_fmac_f16_e32 v69, 0x36a6, v28
	v_fma_f16 v70, v31, 0x36a6, -v70
	v_fma_f16 v109, v28, 0x3abb, -v71
	v_fmamk_f16 v110, v31, 0x3abb, v72
	v_fmac_f16_e32 v71, 0x3abb, v28
	v_fma_f16 v72, v31, 0x3abb, -v72
	v_fma_f16 v111, v28, 0xb93d, -v33
	v_fmamk_f16 v112, v31, 0xb93d, v32
	v_fmac_f16_e32 v33, 0xb93d, v28
	v_fma_f16 v28, v31, 0xb93d, -v32
	v_fma_f16 v31, v34, 0xb93d, -v73
	v_fmac_f16_e32 v73, 0xb93d, v34
	v_fma_f16 v32, v34, 0xb08e, -v74
	v_fmac_f16_e32 v74, 0xb08e, v34
	;; [unrolled: 2-line block ×5, first 2 shown]
	v_fmamk_f16 v34, v37, 0xb93d, v77
	v_fma_f16 v77, v37, 0xb93d, -v77
	v_fmamk_f16 v116, v37, 0xb08e, v78
	v_fma_f16 v78, v37, 0xb08e, -v78
	;; [unrolled: 2-line block ×5, first 2 shown]
	v_fma_f16 v37, v39, 0xbbad, -v81
	v_fmac_f16_e32 v81, 0xbbad, v39
	v_fma_f16 v120, v39, 0x3abb, -v82
	v_fmac_f16_e32 v82, 0x3abb, v39
	;; [unrolled: 2-line block ×5, first 2 shown]
	v_fmamk_f16 v39, v41, 0xbbad, v85
	v_fma_f16 v85, v41, 0xbbad, -v85
	v_fmamk_f16 v124, v41, 0x3abb, v86
	v_fma_f16 v86, v41, 0x3abb, -v86
	;; [unrolled: 2-line block ×5, first 2 shown]
	v_add_f16_e32 v2, v18, v13
	v_add_f16_e32 v13, v18, v14
	;; [unrolled: 1-line block ×94, first 2 shown]
	ds_store_b16 v29, v13 offset:160
	ds_store_b16 v29, v5 offset:180
	;; [unrolled: 1-line block ×9, first 2 shown]
	v_add_f16_e32 v19, v1, v50
	ds_store_b16 v29, v2 offset:20
	ds_store_b16 v29, v0
	s_waitcnt lgkmcnt(0)
	s_barrier
	buffer_gl0_inv
	ds_load_u16 v6, v17 offset:440
	ds_load_u16 v3, v17 offset:660
	;; [unrolled: 1-line block ×6, first 2 shown]
	ds_load_u16 v0, v15
	ds_load_u16 v4, v17 offset:1100
	ds_load_u16 v7, v15 offset:1760
	;; [unrolled: 1-line block ×4, first 2 shown]
	v_add_f16_e32 v51, v102, v91
	v_add_f16_e32 v53, v64, v56
	;; [unrolled: 1-line block ×13, first 2 shown]
	s_waitcnt lgkmcnt(0)
	s_barrier
	v_add_f16_e32 v24, v126, v28
	v_add_f16_e32 v26, v88, v31
	;; [unrolled: 1-line block ×3, first 2 shown]
	buffer_gl0_inv
	ds_store_b16 v29, v19
	ds_store_b16 v29, v34 offset:20
	ds_store_b16 v29, v36 offset:40
	;; [unrolled: 1-line block ×10, first 2 shown]
	s_waitcnt lgkmcnt(0)
	s_barrier
	buffer_gl0_inv
	s_and_saveexec_b32 s0, vcc_lo
	s_cbranch_execz .LBB0_29
; %bb.28:
	v_mul_u32_u24_e32 v16, 10, v16
	v_mul_lo_u32 v12, s2, v12
	v_mad_u64_u32 v[29:30], null, s2, v11, 0
	v_lshlrev_b64 v[8:9], 2, v[8:9]
	s_delay_alu instid0(VALU_DEP_4)
	v_lshlrev_b32_e32 v16, 2, v16
	s_clause 0x2
	global_load_b64 v[27:28], v16, s[8:9] offset:464
	global_load_b128 v[19:22], v16, s[8:9] offset:432
	global_load_b128 v[23:26], v16, s[8:9] offset:448
	v_mul_lo_u32 v16, s3, v11
	v_mov_b32_e32 v11, 0
	s_delay_alu instid0(VALU_DEP_1) | instskip(NEXT) | instid1(VALU_DEP_3)
	v_lshlrev_b64 v[10:11], 2, v[10:11]
	v_add3_u32 v30, v30, v12, v16
	ds_load_u16 v12, v15 offset:2200
	ds_load_u16 v16, v15 offset:1980
	;; [unrolled: 1-line block ×5, first 2 shown]
	v_lshlrev_b64 v[29:30], 2, v[29:30]
	s_delay_alu instid0(VALU_DEP_1) | instskip(NEXT) | instid1(VALU_DEP_2)
	v_add_co_u32 v29, vcc_lo, s6, v29
	v_add_co_ci_u32_e32 v30, vcc_lo, s7, v30, vcc_lo
	s_delay_alu instid0(VALU_DEP_2)
	v_add_co_u32 v8, vcc_lo, v29, v8
	ds_load_u16 v29, v15 offset:220
	ds_load_u16 v15, v15
	v_add_co_ci_u32_e32 v9, vcc_lo, v30, v9, vcc_lo
	ds_load_u16 v30, v17 offset:440
	ds_load_u16 v34, v17 offset:660
	;; [unrolled: 1-line block ×4, first 2 shown]
	v_add_co_u32 v8, vcc_lo, v8, v10
	v_add_co_ci_u32_e32 v9, vcc_lo, v9, v11, vcc_lo
	s_delay_alu instid0(VALU_DEP_2) | instskip(NEXT) | instid1(VALU_DEP_2)
	v_add_co_u32 v10, vcc_lo, 0x1000, v8
	v_add_co_ci_u32_e32 v11, vcc_lo, 0, v9, vcc_lo
	s_waitcnt vmcnt(2)
	v_lshrrev_b32_e32 v37, 16, v28
	s_waitcnt vmcnt(1)
	v_lshrrev_b32_e32 v38, 16, v19
	v_lshrrev_b32_e32 v36, 16, v27
	;; [unrolled: 1-line block ×3, first 2 shown]
	s_waitcnt vmcnt(0)
	v_lshrrev_b32_e32 v42, 16, v23
	v_lshrrev_b32_e32 v45, 16, v26
	v_mul_f16_e32 v46, v18, v37
	v_mul_f16_e32 v47, v14, v38
	s_waitcnt lgkmcnt(5)
	v_mul_f16_e32 v38, v29, v38
	v_mul_f16_e32 v37, v12, v37
	v_lshrrev_b32_e32 v40, 16, v21
	v_mul_f16_e32 v48, v13, v36
	v_mul_f16_e32 v49, v6, v39
	s_waitcnt lgkmcnt(3)
	v_mul_f16_e32 v39, v30, v39
	v_mul_f16_e32 v36, v16, v36
	;; [unrolled: 1-line block ×5, first 2 shown]
	v_fmac_f16_e32 v46, v12, v28
	v_fmac_f16_e32 v47, v29, v19
	v_fma_f16 v12, v14, v19, -v38
	v_fma_f16 v14, v18, v28, -v37
	v_lshrrev_b32_e32 v41, 16, v22
	v_lshrrev_b32_e32 v44, 16, v25
	v_mul_f16_e32 v51, v3, v40
	s_waitcnt lgkmcnt(2)
	v_mul_f16_e32 v40, v34, v40
	s_waitcnt lgkmcnt(0)
	v_mul_f16_e32 v42, v17, v42
	v_fmac_f16_e32 v49, v30, v20
	v_fma_f16 v6, v6, v20, -v39
	v_fma_f16 v13, v13, v27, -v36
	v_fmac_f16_e32 v50, v31, v26
	v_fma_f16 v7, v7, v26, -v45
	v_fmac_f16_e32 v55, v17, v23
	v_sub_f16_e32 v17, v12, v14
	v_add_f16_e32 v26, v14, v12
	v_add_f16_e32 v12, v0, v12
	;; [unrolled: 1-line block ×3, first 2 shown]
	v_lshrrev_b32_e32 v43, 16, v24
	v_mul_f16_e32 v52, v5, v44
	v_mul_f16_e32 v53, v2, v41
	;; [unrolled: 1-line block ×4, first 2 shown]
	v_fmac_f16_e32 v51, v34, v21
	v_fma_f16 v3, v3, v21, -v40
	v_sub_f16_e32 v19, v6, v13
	v_add_f16_e32 v28, v13, v6
	v_add_f16_e32 v6, v12, v6
	v_add_f16_e32 v12, v36, v49
	v_mul_f16_e32 v54, v1, v43
	v_fmac_f16_e32 v53, v35, v22
	v_fma_f16 v2, v2, v22, -v41
	v_fma_f16 v5, v5, v25, -v44
	v_sub_f16_e32 v21, v3, v7
	v_add_f16_e32 v30, v7, v3
	v_add_f16_e32 v3, v6, v3
	v_add_f16_e32 v6, v12, v51
	v_mul_f16_e32 v43, v33, v43
	v_fmac_f16_e32 v48, v16, v27
	v_fmac_f16_e32 v52, v32, v25
	v_fmac_f16_e32 v54, v33, v24
	v_add_f16_e32 v16, v46, v47
	v_sub_f16_e32 v27, v47, v46
	v_fma_f16 v4, v4, v23, -v42
	v_sub_f16_e32 v23, v2, v5
	v_add_f16_e32 v32, v5, v2
	v_add_f16_e32 v2, v3, v2
	;; [unrolled: 1-line block ×3, first 2 shown]
	v_fma_f16 v1, v1, v24, -v43
	v_add_f16_e32 v18, v48, v49
	v_add_f16_e32 v20, v50, v51
	;; [unrolled: 1-line block ×4, first 2 shown]
	v_sub_f16_e32 v29, v49, v48
	v_sub_f16_e32 v31, v51, v50
	;; [unrolled: 1-line block ×4, first 2 shown]
	v_mul_f16_e32 v37, 0x3abb, v16
	v_mul_f16_e32 v42, 0xb853, v27
	;; [unrolled: 1-line block ×10, first 2 shown]
	v_add_f16_e32 v2, v2, v4
	v_add_f16_e32 v3, v3, v55
	v_sub_f16_e32 v25, v4, v1
	v_add_f16_e32 v34, v1, v4
	v_mul_f16_e32 v38, 0x36a6, v18
	v_mul_f16_e32 v39, 0xb08e, v20
	;; [unrolled: 1-line block ×40, first 2 shown]
	v_fmamk_f16 v36, v17, 0x3853, v37
	v_fmamk_f16 v89, v26, 0x3abb, v42
	;; [unrolled: 1-line block ×9, first 2 shown]
	v_fma_f16 v129, 0xbbad, v26, v27
	v_fmac_f16_e32 v16, 0xb482, v17
	v_fma_f16 v27, v26, 0xbbad, -v27
	v_fmac_f16_e32 v76, 0xba0c, v17
	v_fma_f16 v81, v26, 0xb93d, -v81
	;; [unrolled: 2-line block ×5, first 2 shown]
	v_add_f16_e32 v1, v1, v2
	v_add_f16_e32 v2, v54, v3
	v_fmamk_f16 v49, v19, 0x3b47, v38
	v_fmamk_f16 v86, v21, 0x3beb, v39
	;; [unrolled: 1-line block ×35, first 2 shown]
	v_fma_f16 v128, 0x3beb, v25, v24
	v_fma_f16 v130, 0x3abb, v28, v29
	;; [unrolled: 1-line block ×5, first 2 shown]
	v_fmac_f16_e32 v18, 0x3853, v19
	v_fmac_f16_e32 v20, 0xba0c, v21
	v_fmac_f16_e32 v22, 0x3b47, v23
	v_fmac_f16_e32 v24, 0xbbeb, v25
	v_fma_f16 v29, v28, 0x3abb, -v29
	v_fma_f16 v31, v30, 0xb93d, -v31
	v_fma_f16 v33, v32, 0x36a6, -v33
	v_fma_f16 v35, v34, 0xb08e, -v35
	v_fmac_f16_e32 v77, 0x3beb, v19
	v_fmac_f16_e32 v78, 0xb853, v21
	v_fmac_f16_e32 v79, 0xb482, v23
	v_fmac_f16_e32 v80, 0x3b47, v25
	v_fma_f16 v82, v28, 0xb08e, -v82
	v_fma_f16 v83, v30, 0x3abb, -v83
	v_fma_f16 v84, v32, 0xbbad, -v84
	v_fma_f16 v85, v34, 0x36a6, -v85
	;; [unrolled: 8-line block ×5, first 2 shown]
	v_add_f16_e32 v12, v15, v36
	v_add_f16_e32 v26, v0, v89
	;; [unrolled: 1-line block ×9, first 2 shown]
	v_add_f16_e64 v44, v0, v129
	v_add_f16_e32 v16, v15, v16
	v_add_f16_e32 v27, v0, v27
	;; [unrolled: 1-line block ×23, first 2 shown]
	v_add_f16_e64 v37, v44, v130
	v_add_f16_e32 v16, v16, v18
	v_add_f16_e32 v18, v27, v29
	;; [unrolled: 1-line block ×21, first 2 shown]
	v_add_f16_e64 v34, v37, v131
	v_add_f16_e32 v16, v16, v20
	v_add_f16_e32 v18, v18, v31
	;; [unrolled: 1-line block ×28, first 2 shown]
	v_add_f16_e64 v30, v34, v132
	v_add_f16_e32 v18, v18, v33
	v_add_f16_e32 v1, v14, v1
	v_add_f16_e32 v2, v46, v2
	v_add_f16_e32 v7, v15, v41
	v_add_f16_e32 v0, v0, v25
	v_add_f16_e32 v16, v16, v24
	v_add_f16_e32 v24, v27, v70
	v_add_f16_e32 v27, v31, v60
	v_add_f16_e32 v15, v32, v65
	v_add_f16_e32 v13, v29, v75
	v_add_f16_e32 v20, v20, v80
	v_add_f16_e32 v22, v22, v85
	v_add_f16_e32 v3, v3, v88
	v_add_f16_e32 v4, v4, v93
	v_add_f16_e32 v5, v6, v98
	v_add_f16_e32 v6, v12, v103
	v_add_f16_e32 v12, v17, v108
	v_add_f16_e32 v17, v19, v113
	v_add_f16_e32 v19, v21, v118
	v_add_f16_e32 v21, v26, v123
	v_add_f16_e64 v23, v28, v128
	v_add_f16_e64 v26, v30, v133
	v_add_f16_e32 v18, v18, v35
	v_pack_b32_f16 v1, v1, v2
	v_pack_b32_f16 v0, v0, v7
	;; [unrolled: 1-line block ×11, first 2 shown]
	s_clause 0xa
	global_store_b32 v[8:9], v1, off
	global_store_b32 v[8:9], v0, off offset:440
	global_store_b32 v[8:9], v7, off offset:880
	;; [unrolled: 1-line block ×10, first 2 shown]
.LBB0_29:
	s_nop 0
	s_sendmsg sendmsg(MSG_DEALLOC_VGPRS)
	s_endpgm
	.section	.rodata,"a",@progbits
	.p2align	6, 0x0
	.amdhsa_kernel fft_rtc_fwd_len1210_factors_2_5_11_11_wgs_110_tpt_110_halfLds_half_op_CI_CI_unitstride_sbrr_dirReg
		.amdhsa_group_segment_fixed_size 0
		.amdhsa_private_segment_fixed_size 0
		.amdhsa_kernarg_size 104
		.amdhsa_user_sgpr_count 15
		.amdhsa_user_sgpr_dispatch_ptr 0
		.amdhsa_user_sgpr_queue_ptr 0
		.amdhsa_user_sgpr_kernarg_segment_ptr 1
		.amdhsa_user_sgpr_dispatch_id 0
		.amdhsa_user_sgpr_private_segment_size 0
		.amdhsa_wavefront_size32 1
		.amdhsa_uses_dynamic_stack 0
		.amdhsa_enable_private_segment 0
		.amdhsa_system_sgpr_workgroup_id_x 1
		.amdhsa_system_sgpr_workgroup_id_y 0
		.amdhsa_system_sgpr_workgroup_id_z 0
		.amdhsa_system_sgpr_workgroup_info 0
		.amdhsa_system_vgpr_workitem_id 0
		.amdhsa_next_free_vgpr 134
		.amdhsa_next_free_sgpr 27
		.amdhsa_reserve_vcc 1
		.amdhsa_float_round_mode_32 0
		.amdhsa_float_round_mode_16_64 0
		.amdhsa_float_denorm_mode_32 3
		.amdhsa_float_denorm_mode_16_64 3
		.amdhsa_dx10_clamp 1
		.amdhsa_ieee_mode 1
		.amdhsa_fp16_overflow 0
		.amdhsa_workgroup_processor_mode 1
		.amdhsa_memory_ordered 1
		.amdhsa_forward_progress 0
		.amdhsa_shared_vgpr_count 0
		.amdhsa_exception_fp_ieee_invalid_op 0
		.amdhsa_exception_fp_denorm_src 0
		.amdhsa_exception_fp_ieee_div_zero 0
		.amdhsa_exception_fp_ieee_overflow 0
		.amdhsa_exception_fp_ieee_underflow 0
		.amdhsa_exception_fp_ieee_inexact 0
		.amdhsa_exception_int_div_zero 0
	.end_amdhsa_kernel
	.text
.Lfunc_end0:
	.size	fft_rtc_fwd_len1210_factors_2_5_11_11_wgs_110_tpt_110_halfLds_half_op_CI_CI_unitstride_sbrr_dirReg, .Lfunc_end0-fft_rtc_fwd_len1210_factors_2_5_11_11_wgs_110_tpt_110_halfLds_half_op_CI_CI_unitstride_sbrr_dirReg
                                        ; -- End function
	.section	.AMDGPU.csdata,"",@progbits
; Kernel info:
; codeLenInByte = 9748
; NumSgprs: 29
; NumVgprs: 134
; ScratchSize: 0
; MemoryBound: 0
; FloatMode: 240
; IeeeMode: 1
; LDSByteSize: 0 bytes/workgroup (compile time only)
; SGPRBlocks: 3
; VGPRBlocks: 16
; NumSGPRsForWavesPerEU: 29
; NumVGPRsForWavesPerEU: 134
; Occupancy: 10
; WaveLimiterHint : 1
; COMPUTE_PGM_RSRC2:SCRATCH_EN: 0
; COMPUTE_PGM_RSRC2:USER_SGPR: 15
; COMPUTE_PGM_RSRC2:TRAP_HANDLER: 0
; COMPUTE_PGM_RSRC2:TGID_X_EN: 1
; COMPUTE_PGM_RSRC2:TGID_Y_EN: 0
; COMPUTE_PGM_RSRC2:TGID_Z_EN: 0
; COMPUTE_PGM_RSRC2:TIDIG_COMP_CNT: 0
	.text
	.p2alignl 7, 3214868480
	.fill 96, 4, 3214868480
	.type	__hip_cuid_33d398f5aa4dadb6,@object ; @__hip_cuid_33d398f5aa4dadb6
	.section	.bss,"aw",@nobits
	.globl	__hip_cuid_33d398f5aa4dadb6
__hip_cuid_33d398f5aa4dadb6:
	.byte	0                               ; 0x0
	.size	__hip_cuid_33d398f5aa4dadb6, 1

	.ident	"AMD clang version 19.0.0git (https://github.com/RadeonOpenCompute/llvm-project roc-6.4.0 25133 c7fe45cf4b819c5991fe208aaa96edf142730f1d)"
	.section	".note.GNU-stack","",@progbits
	.addrsig
	.addrsig_sym __hip_cuid_33d398f5aa4dadb6
	.amdgpu_metadata
---
amdhsa.kernels:
  - .args:
      - .actual_access:  read_only
        .address_space:  global
        .offset:         0
        .size:           8
        .value_kind:     global_buffer
      - .offset:         8
        .size:           8
        .value_kind:     by_value
      - .actual_access:  read_only
        .address_space:  global
        .offset:         16
        .size:           8
        .value_kind:     global_buffer
      - .actual_access:  read_only
        .address_space:  global
        .offset:         24
        .size:           8
        .value_kind:     global_buffer
      - .actual_access:  read_only
        .address_space:  global
        .offset:         32
        .size:           8
        .value_kind:     global_buffer
      - .offset:         40
        .size:           8
        .value_kind:     by_value
      - .actual_access:  read_only
        .address_space:  global
        .offset:         48
        .size:           8
        .value_kind:     global_buffer
      - .actual_access:  read_only
        .address_space:  global
        .offset:         56
        .size:           8
        .value_kind:     global_buffer
      - .offset:         64
        .size:           4
        .value_kind:     by_value
      - .actual_access:  read_only
        .address_space:  global
        .offset:         72
        .size:           8
        .value_kind:     global_buffer
      - .actual_access:  read_only
        .address_space:  global
        .offset:         80
        .size:           8
        .value_kind:     global_buffer
      - .actual_access:  read_only
        .address_space:  global
        .offset:         88
        .size:           8
        .value_kind:     global_buffer
      - .actual_access:  write_only
        .address_space:  global
        .offset:         96
        .size:           8
        .value_kind:     global_buffer
    .group_segment_fixed_size: 0
    .kernarg_segment_align: 8
    .kernarg_segment_size: 104
    .language:       OpenCL C
    .language_version:
      - 2
      - 0
    .max_flat_workgroup_size: 110
    .name:           fft_rtc_fwd_len1210_factors_2_5_11_11_wgs_110_tpt_110_halfLds_half_op_CI_CI_unitstride_sbrr_dirReg
    .private_segment_fixed_size: 0
    .sgpr_count:     29
    .sgpr_spill_count: 0
    .symbol:         fft_rtc_fwd_len1210_factors_2_5_11_11_wgs_110_tpt_110_halfLds_half_op_CI_CI_unitstride_sbrr_dirReg.kd
    .uniform_work_group_size: 1
    .uses_dynamic_stack: false
    .vgpr_count:     134
    .vgpr_spill_count: 0
    .wavefront_size: 32
    .workgroup_processor_mode: 1
amdhsa.target:   amdgcn-amd-amdhsa--gfx1100
amdhsa.version:
  - 1
  - 2
...

	.end_amdgpu_metadata
